;; amdgpu-corpus repo=ROCm/hip-tests kind=compiled arch=gfx906 opt=O3
	.amdgcn_target "amdgcn-amd-amdhsa--gfx906"
	.amdhsa_code_object_version 6
	.text
	.protected	_Z9floatMathPfS_        ; -- Begin function _Z9floatMathPfS_
	.globl	_Z9floatMathPfS_
	.p2align	8
	.type	_Z9floatMathPfS_,@function
_Z9floatMathPfS_:                       ; @_Z9floatMathPfS_
; %bb.0:
	s_load_dword s7, s[4:5], 0x1c
	s_load_dwordx4 s[0:3], s[4:5], 0x0
	s_mov_b32 s8, 0x3e9a209a
	v_mov_b32_e32 v7, 0x411a209b
	s_mov_b32 s5, 0x3f317217
	s_waitcnt lgkmcnt(0)
	s_and_b32 s4, s7, 0xffff
	s_mul_i32 s6, s6, s4
	v_add_u32_e32 v0, s6, v0
	v_ashrrev_i32_e32 v1, 31, v0
	v_lshlrev_b64 v[0:1], 2, v[0:1]
	v_mov_b32_e32 v3, s1
	v_add_co_u32_e32 v2, vcc, s0, v0
	v_addc_co_u32_e32 v3, vcc, v3, v1, vcc
	global_load_dword v4, v[2:3], off
	s_mov_b32 s4, 0x800000
	s_mov_b32 s1, 0x7f800000
	v_mov_b32_e32 v6, 0x41b17218
	s_mov_b32 s6, 0x3f2aaaab
	s_mov_b32 s9, 0x3f317218
	s_movk_i32 s7, 0x204
	s_mov_b32 s0, 0x3fb8aa3b
	s_mov_b32 s10, 0xc2ce8ed0
	s_waitcnt vmcnt(0)
	v_mul_f32_e32 v4, 0.15915494, v4
	v_cos_f32_e32 v4, v4
	v_mul_f32_e32 v4, 0x40549a78, v4
	v_exp_f32_e32 v4, v4
	v_mul_f32_e32 v4, 0x3fb8aa3b, v4
	v_exp_f32_e32 v4, v4
	v_rsq_f32_e32 v4, v4
	v_cmp_gt_f32_e32 vcc, s4, v4
	v_cndmask_b32_e64 v5, 0, 32, vcc
	v_ldexp_f32 v4, v4, v5
	v_sqrt_f32_e32 v8, v4
	v_cndmask_b32_e64 v9, 0, -16, vcc
	v_mov_b32_e32 v5, 0x3e91f4c4
	v_mov_b32_e32 v4, 0x3ecccdef
	v_ldexp_f32 v8, v8, v9
	v_cmp_gt_f32_e32 vcc, s4, v8
	v_cndmask_b32_e64 v9, 0, 32, vcc
	v_ldexp_f32 v8, v8, v9
	v_log_f32_e32 v8, v8
	v_cndmask_b32_e32 v7, 0, v7, vcc
	v_mul_f32_e32 v9, 0x3e9a209a, v8
	v_fma_f32 v9, v8, s8, -v9
	v_fmac_f32_e32 v9, 0x3284fbcf, v8
	v_fmac_f32_e32 v9, 0x3e9a209a, v8
	v_cmp_lt_f32_e64 vcc, |v8|, s1
	v_cndmask_b32_e32 v8, v8, v9, vcc
	v_sub_f32_e32 v7, v8, v7
	v_log_f32_e32 v8, v7
	s_mov_b32 s8, 0x42b17218
	v_mov_b32_e32 v7, 0x37000000
	v_cmp_gt_f32_e32 vcc, s4, v8
	v_cndmask_b32_e64 v9, 0, 32, vcc
	v_ldexp_f32 v8, v8, v9
	v_log_f32_e32 v10, v8
	v_cndmask_b32_e32 v6, 0, v6, vcc
	v_mov_b32_e32 v8, 0x7f800000
	v_mov_b32_e32 v9, 0x7fc00000
	v_mul_f32_e32 v11, 0x3f317217, v10
	v_fma_f32 v11, v10, s5, -v11
	v_fmac_f32_e32 v11, 0x3377d1cf, v10
	v_fmac_f32_e32 v11, 0x3f317217, v10
	v_cmp_lt_f32_e64 vcc, |v10|, s1
	v_cndmask_b32_e32 v10, v10, v11, vcc
	v_sub_f32_e32 v6, v10, v6
	v_cmp_eq_f32_e32 vcc, 0, v6
	v_cndmask_b32_e64 v10, 2.0, 1.0, vcc
	v_cmp_neq_f32_e64 s[4:5], v6, |v6|
	v_cndmask_b32_e64 v13, v8, 0, s[4:5]
	v_frexp_mant_f32_e32 v14, v10
	v_cvt_f64_f32_e32 v[11:12], v10
	v_cndmask_b32_e64 v10, v13, 1.0, vcc
	v_cmp_gt_f32_e32 vcc, s6, v14
	v_cndmask_b32_e64 v13, 1.0, 2.0, vcc
	v_mul_f32_e32 v13, v14, v13
	v_add_f32_e32 v15, 1.0, v13
	v_rcp_f32_e32 v16, v15
	v_frexp_exp_i32_f64_e32 v11, v[11:12]
	v_add_f32_e32 v14, -1.0, v13
	v_add_f32_e32 v17, -1.0, v15
	v_sub_f32_e32 v12, v13, v17
	v_mul_f32_e32 v13, v14, v16
	v_mul_f32_e32 v17, v15, v13
	v_fma_f32 v15, v13, v15, -v17
	v_fmac_f32_e32 v15, v13, v12
	v_add_f32_e32 v12, v17, v15
	v_subbrev_co_u32_e32 v11, vcc, 0, v11, vcc
	v_sub_f32_e32 v18, v14, v12
	v_sub_f32_e32 v17, v12, v17
	v_cvt_f32_i32_e32 v11, v11
	v_sub_f32_e32 v14, v14, v18
	v_sub_f32_e32 v15, v17, v15
	;; [unrolled: 1-line block ×3, first 2 shown]
	v_add_f32_e32 v12, v15, v12
	v_add_f32_e32 v12, v18, v12
	v_mul_f32_e32 v14, 0x3f317218, v11
	v_mul_f32_e32 v12, v16, v12
	v_fma_f32 v15, v11, s9, -v14
	v_add_f32_e32 v16, v13, v12
	v_fmac_f32_e32 v15, 0xb102e308, v11
	v_sub_f32_e32 v11, v16, v13
	v_mul_f32_e32 v13, v16, v16
	v_sub_f32_e32 v11, v12, v11
	v_fma_f32 v12, v16, v16, -v13
	v_add_f32_e32 v19, v11, v11
	v_fmac_f32_e32 v12, v16, v19
	v_add_f32_e32 v19, v13, v12
	v_fmac_f32_e32 v5, 0x3e76c4e1, v19
	v_add_f32_e32 v18, v14, v15
	v_sub_f32_e32 v13, v19, v13
	v_fmac_f32_e32 v4, v19, v5
	v_mul_f32_e32 v5, v16, v19
	v_sub_f32_e32 v14, v18, v14
	v_sub_f32_e32 v12, v12, v13
	v_fma_f32 v13, v19, v16, -v5
	v_sub_f32_e32 v14, v15, v14
	v_ldexp_f32 v15, v11, 1
	v_fmac_f32_e32 v13, v19, v11
	v_mul_f32_e32 v11, v19, v4
	v_ldexp_f32 v17, v16, 1
	v_fmac_f32_e32 v13, v12, v16
	v_fma_f32 v16, v19, v4, -v11
	v_add_f32_e32 v19, v5, v13
	v_fmac_f32_e32 v16, v12, v4
	v_sub_f32_e32 v4, v19, v5
	v_add_f32_e32 v5, v11, v16
	v_add_f32_e32 v12, 0x3f2aaaaa, v5
	v_sub_f32_e32 v11, v5, v11
	v_sub_f32_e32 v4, v13, v4
	;; [unrolled: 1-line block ×3, first 2 shown]
	v_add_f32_e32 v13, 0xbf2aaaaa, v12
	v_add_f32_e32 v11, 0x31739010, v11
	v_sub_f32_e32 v5, v5, v13
	v_add_f32_e32 v5, v11, v5
	v_add_f32_e32 v11, v12, v5
	v_sub_f32_e32 v12, v12, v11
	v_mul_f32_e32 v13, v19, v11
	v_add_f32_e32 v5, v5, v12
	v_fma_f32 v12, v19, v11, -v13
	v_fmac_f32_e32 v12, v19, v5
	v_fmac_f32_e32 v12, v4, v11
	v_add_f32_e32 v4, v13, v12
	v_sub_f32_e32 v5, v4, v13
	v_add_f32_e32 v11, v17, v4
	v_sub_f32_e32 v5, v12, v5
	v_sub_f32_e32 v12, v11, v17
	;; [unrolled: 1-line block ×3, first 2 shown]
	v_add_f32_e32 v5, v15, v5
	v_add_f32_e32 v4, v5, v4
	;; [unrolled: 1-line block ×3, first 2 shown]
	v_sub_f32_e32 v11, v5, v11
	v_add_f32_e32 v12, v18, v5
	v_sub_f32_e32 v4, v4, v11
	v_sub_f32_e32 v11, v12, v18
	;; [unrolled: 1-line block ×5, first 2 shown]
	v_add_f32_e32 v11, v14, v4
	v_add_f32_e32 v5, v5, v13
	v_sub_f32_e32 v15, v11, v14
	v_add_f32_e32 v5, v11, v5
	v_sub_f32_e32 v13, v11, v15
	;; [unrolled: 2-line block ×3, first 2 shown]
	v_sub_f32_e32 v13, v14, v13
	v_sub_f32_e32 v12, v11, v12
	v_add_f32_e32 v4, v4, v13
	v_sub_f32_e32 v5, v5, v12
	v_add_f32_e32 v4, v4, v5
	v_add_f32_e32 v5, v11, v4
	v_sub_f32_e32 v11, v5, v11
	v_mul_f32_e32 v12, v6, v5
	v_sub_f32_e32 v4, v4, v11
	v_fma_f32 v5, v6, v5, -v12
	v_fmac_f32_e32 v5, v6, v4
	v_add_f32_e32 v4, v12, v5
	v_cmp_class_f32_e64 vcc, v12, s7
	v_sub_f32_e32 v11, v4, v12
	v_cndmask_b32_e32 v4, v4, v12, vcc
	v_cmp_eq_f32_e32 vcc, s8, v4
	v_cndmask_b32_e32 v7, 0, v7, vcc
	v_sub_f32_e32 v5, v5, v11
	v_sub_f32_e32 v11, v4, v7
	v_mul_f32_e32 v12, 0x3fb8aa3b, v11
	v_fma_f32 v13, v11, s0, -v12
	v_rndne_f32_e32 v14, v12
	v_fmac_f32_e32 v13, 0x32a5705f, v11
	v_sub_f32_e32 v12, v12, v14
	v_add_f32_e32 v12, v12, v13
	v_cvt_i32_f32_e32 v14, v14
	v_exp_f32_e32 v12, v12
	v_cmp_neq_f32_e64 vcc, |v4|, s1
	v_cndmask_b32_e32 v4, 0, v5, vcc
	v_cmp_ngt_f32_e32 vcc, s10, v11
	v_ldexp_f32 v5, v12, v14
	v_cndmask_b32_e32 v5, 0, v5, vcc
	v_cmp_nlt_f32_e32 vcc, s8, v11
	v_add_f32_e32 v4, v7, v4
	v_cndmask_b32_e32 v5, v8, v5, vcc
	v_fma_f32 v4, v5, v4, v5
	v_cmp_class_f32_e64 vcc, v5, s7
	v_cndmask_b32_e32 v4, v4, v5, vcc
	v_cmp_class_f32_e64 s[0:1], v6, s7
	v_cndmask_b32_e64 v4, |v4|, v10, s[0:1]
	v_cmp_o_f32_e32 vcc, v6, v6
	v_cndmask_b32_e32 v4, v9, v4, vcc
	v_mul_f32_e32 v4, 0.15915494, v4
	v_cos_f32_e32 v5, v4
	v_sin_f32_e32 v4, v4
	v_mov_b32_e32 v7, s3
	v_add_co_u32_e32 v0, vcc, s2, v0
	v_mul_f32_e32 v5, 0.15915494, v5
	v_sin_f32_e32 v5, v5
	v_addc_co_u32_e32 v1, vcc, v7, v1, vcc
	global_store_dword v[2:3], v4, off
	v_mul_f32_e32 v5, 0.15915494, v5
	v_cos_f32_e32 v5, v5
	v_mul_f32_e32 v5, 0.15915494, v5
	v_cos_f32_e32 v6, v5
	v_sin_f32_e32 v5, v5
	v_rcp_f32_e32 v6, v6
	v_mul_f32_e32 v2, v5, v6
	global_store_dword v[0:1], v2, off
	s_endpgm
	.section	.rodata,"a",@progbits
	.p2align	6, 0x0
	.amdhsa_kernel _Z9floatMathPfS_
		.amdhsa_group_segment_fixed_size 0
		.amdhsa_private_segment_fixed_size 0
		.amdhsa_kernarg_size 272
		.amdhsa_user_sgpr_count 6
		.amdhsa_user_sgpr_private_segment_buffer 1
		.amdhsa_user_sgpr_dispatch_ptr 0
		.amdhsa_user_sgpr_queue_ptr 0
		.amdhsa_user_sgpr_kernarg_segment_ptr 1
		.amdhsa_user_sgpr_dispatch_id 0
		.amdhsa_user_sgpr_flat_scratch_init 0
		.amdhsa_user_sgpr_private_segment_size 0
		.amdhsa_uses_dynamic_stack 0
		.amdhsa_system_sgpr_private_segment_wavefront_offset 0
		.amdhsa_system_sgpr_workgroup_id_x 1
		.amdhsa_system_sgpr_workgroup_id_y 0
		.amdhsa_system_sgpr_workgroup_id_z 0
		.amdhsa_system_sgpr_workgroup_info 0
		.amdhsa_system_vgpr_workitem_id 0
		.amdhsa_next_free_vgpr 20
		.amdhsa_next_free_sgpr 11
		.amdhsa_reserve_vcc 1
		.amdhsa_reserve_flat_scratch 0
		.amdhsa_float_round_mode_32 0
		.amdhsa_float_round_mode_16_64 0
		.amdhsa_float_denorm_mode_32 3
		.amdhsa_float_denorm_mode_16_64 3
		.amdhsa_dx10_clamp 1
		.amdhsa_ieee_mode 1
		.amdhsa_fp16_overflow 0
		.amdhsa_exception_fp_ieee_invalid_op 0
		.amdhsa_exception_fp_denorm_src 0
		.amdhsa_exception_fp_ieee_div_zero 0
		.amdhsa_exception_fp_ieee_overflow 0
		.amdhsa_exception_fp_ieee_underflow 0
		.amdhsa_exception_fp_ieee_inexact 0
		.amdhsa_exception_int_div_zero 0
	.end_amdhsa_kernel
	.text
.Lfunc_end0:
	.size	_Z9floatMathPfS_, .Lfunc_end0-_Z9floatMathPfS_
                                        ; -- End function
	.set _Z9floatMathPfS_.num_vgpr, 20
	.set _Z9floatMathPfS_.num_agpr, 0
	.set _Z9floatMathPfS_.numbered_sgpr, 11
	.set _Z9floatMathPfS_.num_named_barrier, 0
	.set _Z9floatMathPfS_.private_seg_size, 0
	.set _Z9floatMathPfS_.uses_vcc, 1
	.set _Z9floatMathPfS_.uses_flat_scratch, 0
	.set _Z9floatMathPfS_.has_dyn_sized_stack, 0
	.set _Z9floatMathPfS_.has_recursion, 0
	.set _Z9floatMathPfS_.has_indirect_call, 0
	.section	.AMDGPU.csdata,"",@progbits
; Kernel info:
; codeLenInByte = 1200
; TotalNumSgprs: 15
; NumVgprs: 20
; ScratchSize: 0
; MemoryBound: 0
; FloatMode: 240
; IeeeMode: 1
; LDSByteSize: 0 bytes/workgroup (compile time only)
; SGPRBlocks: 1
; VGPRBlocks: 4
; NumSGPRsForWavesPerEU: 15
; NumVGPRsForWavesPerEU: 20
; Occupancy: 10
; WaveLimiterHint : 0
; COMPUTE_PGM_RSRC2:SCRATCH_EN: 0
; COMPUTE_PGM_RSRC2:USER_SGPR: 6
; COMPUTE_PGM_RSRC2:TRAP_HANDLER: 0
; COMPUTE_PGM_RSRC2:TGID_X_EN: 1
; COMPUTE_PGM_RSRC2:TGID_Y_EN: 0
; COMPUTE_PGM_RSRC2:TGID_Z_EN: 0
; COMPUTE_PGM_RSRC2:TIDIG_COMP_CNT: 0
	.section	.AMDGPU.gpr_maximums,"",@progbits
	.set amdgpu.max_num_vgpr, 0
	.set amdgpu.max_num_agpr, 0
	.set amdgpu.max_num_sgpr, 0
	.section	.AMDGPU.csdata,"",@progbits
	.type	__hip_cuid_f3524da26112d77d,@object ; @__hip_cuid_f3524da26112d77d
	.section	.bss,"aw",@nobits
	.globl	__hip_cuid_f3524da26112d77d
__hip_cuid_f3524da26112d77d:
	.byte	0                               ; 0x0
	.size	__hip_cuid_f3524da26112d77d, 1

	.ident	"AMD clang version 22.0.0git (https://github.com/RadeonOpenCompute/llvm-project roc-7.2.4 26084 f58b06dce1f9c15707c5f808fd002e18c2accf7e)"
	.section	".note.GNU-stack","",@progbits
	.addrsig
	.addrsig_sym __hip_cuid_f3524da26112d77d
	.amdgpu_metadata
---
amdhsa.kernels:
  - .args:
      - .address_space:  global
        .offset:         0
        .size:           8
        .value_kind:     global_buffer
      - .address_space:  global
        .offset:         8
        .size:           8
        .value_kind:     global_buffer
      - .offset:         16
        .size:           4
        .value_kind:     hidden_block_count_x
      - .offset:         20
        .size:           4
        .value_kind:     hidden_block_count_y
      - .offset:         24
        .size:           4
        .value_kind:     hidden_block_count_z
      - .offset:         28
        .size:           2
        .value_kind:     hidden_group_size_x
      - .offset:         30
        .size:           2
        .value_kind:     hidden_group_size_y
      - .offset:         32
        .size:           2
        .value_kind:     hidden_group_size_z
      - .offset:         34
        .size:           2
        .value_kind:     hidden_remainder_x
      - .offset:         36
        .size:           2
        .value_kind:     hidden_remainder_y
      - .offset:         38
        .size:           2
        .value_kind:     hidden_remainder_z
      - .offset:         56
        .size:           8
        .value_kind:     hidden_global_offset_x
      - .offset:         64
        .size:           8
        .value_kind:     hidden_global_offset_y
      - .offset:         72
        .size:           8
        .value_kind:     hidden_global_offset_z
      - .offset:         80
        .size:           2
        .value_kind:     hidden_grid_dims
    .group_segment_fixed_size: 0
    .kernarg_segment_align: 8
    .kernarg_segment_size: 272
    .language:       OpenCL C
    .language_version:
      - 2
      - 0
    .max_flat_workgroup_size: 1024
    .name:           _Z9floatMathPfS_
    .private_segment_fixed_size: 0
    .sgpr_count:     15
    .sgpr_spill_count: 0
    .symbol:         _Z9floatMathPfS_.kd
    .uniform_work_group_size: 1
    .uses_dynamic_stack: false
    .vgpr_count:     20
    .vgpr_spill_count: 0
    .wavefront_size: 64
amdhsa.target:   amdgcn-amd-amdhsa--gfx906
amdhsa.version:
  - 1
  - 2
...

	.end_amdgpu_metadata
